;; amdgpu-corpus repo=zjin-lcf/HeCBench kind=compiled arch=gfx950 opt=O3
	.amdgcn_target "amdgcn-amd-amdhsa--gfx950"
	.amdhsa_code_object_version 6
	.text
	.protected	_Z10ker_KeccakPKjPjS0_  ; -- Begin function _Z10ker_KeccakPKjPjS0_
	.globl	_Z10ker_KeccakPKjPjS0_
	.p2align	8
	.type	_Z10ker_KeccakPKjPjS0_,@function
_Z10ker_KeccakPKjPjS0_:                 ; @_Z10ker_KeccakPKjPjS0_
; %bb.0:
	s_load_dwordx4 s[4:7], s[0:1], 0x0
	s_load_dwordx2 s[8:9], s[0:1], 0x10
	v_lshl_or_b32 v1, s2, 19, v0
	s_mov_b32 s3, 0
	v_mov_b32_e32 v3, 0
	v_mov_b32_e32 v8, 0
	v_mov_b32_e32 v6, 0
	v_mov_b32_e32 v5, 0
	v_mov_b32_e32 v4, 0
	v_mov_b32_e32 v12, 0
	v_mov_b32_e32 v10, 0
	v_mov_b32_e32 v7, 0
	v_mov_b32_e32 v11, 0
	v_mov_b32_e32 v9, 0
	v_mov_b32_e32 v20, 0
	v_mov_b32_e32 v18, 0
	v_mov_b32_e32 v16, 0
	v_mov_b32_e32 v14, 0
	v_mov_b32_e32 v13, 0
	v_mov_b32_e32 v23, 0
	v_mov_b32_e32 v21, 0
	v_mov_b32_e32 v19, 0
	v_mov_b32_e32 v17, 0
	v_mov_b32_e32 v15, 0
	v_mov_b32_e32 v26, 0
	v_mov_b32_e32 v27, 0
	v_mov_b32_e32 v25, 0
	v_mov_b32_e32 v24, 0
	v_mov_b32_e32 v22, 0
	v_mov_b32_e32 v28, 0
.LBB0_1:                                ; =>This Loop Header: Depth=1
                                        ;     Child Loop BB0_2 Depth 2
	v_lshl_add_u32 v2, s3, 9, v1
	s_waitcnt lgkmcnt(0)
	v_lshl_add_u64 v[30:31], v[2:3], 2, s[4:5]
	v_add_u32_e32 v32, 64, v2
	v_mov_b32_e32 v33, v3
	v_add_u32_e32 v34, 0x80, v2
	v_mov_b32_e32 v35, v3
	;; [unrolled: 2-line block ×6, first 2 shown]
	v_add_u32_e32 v2, 0x1c0, v2
	v_lshl_add_u64 v[32:33], v[32:33], 2, s[4:5]
	v_lshl_add_u64 v[34:35], v[34:35], 2, s[4:5]
	;; [unrolled: 1-line block ×7, first 2 shown]
	global_load_dword v2, v[30:31], off
	global_load_dword v29, v[32:33], off
	;; [unrolled: 1-line block ×8, first 2 shown]
	s_mov_b64 s[0:1], 0
	s_waitcnt vmcnt(7)
	v_xor_b32_e32 v28, v2, v28
	s_waitcnt vmcnt(6)
	v_xor_b32_e32 v8, v29, v8
	;; [unrolled: 2-line block ×8, first 2 shown]
.LBB0_2:                                ;   Parent Loop BB0_1 Depth=1
                                        ; =>  This Inner Loop Header: Depth=2
	v_xor_b32_e32 v29, v10, v8
	v_xor_b32_e32 v29, v29, v18
	;; [unrolled: 1-line block ×14, first 2 shown]
	v_alignbit_b32 v33, v29, v29, 31
	v_xor_b32_e32 v2, v2, v23
	v_xor_b32_e32 v30, v30, v25
	;; [unrolled: 1-line block ×11, first 2 shown]
	v_alignbit_b32 v33, v30, v30, 31
	v_xor_b32_e32 v31, v31, v24
	v_xor_b32_e32 v33, v33, v2
	s_add_u32 s10, s8, s0
	v_xor_b32_e32 v8, v33, v8
	v_xor_b32_e32 v10, v33, v10
	;; [unrolled: 1-line block ×5, first 2 shown]
	v_alignbit_b32 v33, v31, v31, 31
	s_addc_u32 s11, s9, s1
	v_xor_b32_e32 v29, v33, v29
	s_load_dword s10, s[10:11], 0x0
	v_xor_b32_e32 v6, v29, v6
	v_xor_b32_e32 v7, v29, v7
	;; [unrolled: 1-line block ×5, first 2 shown]
	v_alignbit_b32 v29, v32, v32, 31
	v_alignbit_b32 v2, v2, v2, 31
	v_xor_b32_e32 v29, v29, v30
	v_xor_b32_e32 v2, v31, v2
	;; [unrolled: 1-line block ×12, first 2 shown]
	v_alignbit_b32 v29, v7, v7, 26
	v_alignbit_b32 v7, v17, v17, 11
	;; [unrolled: 1-line block ×5, first 2 shown]
	s_add_u32 s0, s0, 4
	v_alignbit_b32 v22, v8, v8, 31
	v_alignbit_b32 v20, v20, v20, 29
	;; [unrolled: 1-line block ×19, first 2 shown]
	v_bitop3_b32 v6, v2, v36, v7 bitop3:0x9c
	v_bitop3_b32 v5, v7, v28, v2 bitop3:0xb4
	;; [unrolled: 1-line block ×3, first 2 shown]
	s_waitcnt lgkmcnt(0)
	v_bitop3_b32 v2, v36, s10, v39 bitop3:0x9c
	s_addc_u32 s1, s1, 0
	v_bitop3_b32 v8, v7, v39, v36 bitop3:0x9c
	v_bitop3_b32 v12, v17, v20, v9 bitop3:0xb4
	v_bitop3_b32 v10, v18, v9, v20 bitop3:0x9c
	v_bitop3_b32 v7, v20, v13, v18 bitop3:0xb4
	v_bitop3_b32 v11, v17, v18, v13 bitop3:0x9c
	v_bitop3_b32 v9, v9, v13, v17 bitop3:0x9c
	v_bitop3_b32 v20, v14, v22, v29 bitop3:0x9c
	v_bitop3_b32 v18, v15, v29, v14 bitop3:0x9c
	v_bitop3_b32 v16, v14, v19, v15 bitop3:0xb4
	v_bitop3_b32 v14, v22, v15, v19 bitop3:0x9c
	v_bitop3_b32 v13, v19, v29, v22 bitop3:0xb4
	v_bitop3_b32 v23, v30, v27, v32 bitop3:0x9c
	v_bitop3_b32 v21, v32, v31, v30 bitop3:0xb4
	v_bitop3_b32 v19, v24, v30, v31 bitop3:0x9c
	v_bitop3_b32 v17, v27, v31, v24 bitop3:0x9c
	v_bitop3_b32 v15, v24, v32, v27 bitop3:0xb4
	v_bitop3_b32 v26, v38, v37, v33 bitop3:0x9c
	v_bitop3_b32 v27, v33, v35, v38 bitop3:0xb4
	v_bitop3_b32 v25, v34, v38, v35 bitop3:0x9c
	v_bitop3_b32 v24, v35, v37, v34 bitop3:0xb4
	v_bitop3_b32 v22, v33, v34, v37 bitop3:0x9c
	s_cmpk_lg_i32 s0, 0x58
	v_xor_b32_e32 v28, v2, v28
	s_cbranch_scc1 .LBB0_2
; %bb.3:                                ;   in Loop: Header=BB0_1 Depth=1
	s_add_i32 s3, s3, 1
	s_cmpk_eq_i32 s3, 0x400
	s_cbranch_scc0 .LBB0_1
; %bb.4:
	s_lshl_b32 s0, s2, 9
	s_and_b32 s0, s0, 0x3ffffe00
	v_add_u32_e32 v0, s0, v0
	v_mov_b32_e32 v1, 0
	v_lshl_add_u64 v[0:1], v[0:1], 2, s[6:7]
	global_store_dword v[0:1], v28, off
	global_store_dword v[0:1], v8, off offset:256
	global_store_dword v[0:1], v6, off offset:512
	;; [unrolled: 1-line block ×7, first 2 shown]
	s_endpgm
	.section	.rodata,"a",@progbits
	.p2align	6, 0x0
	.amdhsa_kernel _Z10ker_KeccakPKjPjS0_
		.amdhsa_group_segment_fixed_size 0
		.amdhsa_private_segment_fixed_size 0
		.amdhsa_kernarg_size 24
		.amdhsa_user_sgpr_count 2
		.amdhsa_user_sgpr_dispatch_ptr 0
		.amdhsa_user_sgpr_queue_ptr 0
		.amdhsa_user_sgpr_kernarg_segment_ptr 1
		.amdhsa_user_sgpr_dispatch_id 0
		.amdhsa_user_sgpr_kernarg_preload_length 0
		.amdhsa_user_sgpr_kernarg_preload_offset 0
		.amdhsa_user_sgpr_private_segment_size 0
		.amdhsa_uses_dynamic_stack 0
		.amdhsa_enable_private_segment 0
		.amdhsa_system_sgpr_workgroup_id_x 1
		.amdhsa_system_sgpr_workgroup_id_y 0
		.amdhsa_system_sgpr_workgroup_id_z 0
		.amdhsa_system_sgpr_workgroup_info 0
		.amdhsa_system_vgpr_workitem_id 0
		.amdhsa_next_free_vgpr 52
		.amdhsa_next_free_sgpr 12
		.amdhsa_accum_offset 52
		.amdhsa_reserve_vcc 0
		.amdhsa_float_round_mode_32 0
		.amdhsa_float_round_mode_16_64 0
		.amdhsa_float_denorm_mode_32 3
		.amdhsa_float_denorm_mode_16_64 3
		.amdhsa_dx10_clamp 1
		.amdhsa_ieee_mode 1
		.amdhsa_fp16_overflow 0
		.amdhsa_tg_split 0
		.amdhsa_exception_fp_ieee_invalid_op 0
		.amdhsa_exception_fp_denorm_src 0
		.amdhsa_exception_fp_ieee_div_zero 0
		.amdhsa_exception_fp_ieee_overflow 0
		.amdhsa_exception_fp_ieee_underflow 0
		.amdhsa_exception_fp_ieee_inexact 0
		.amdhsa_exception_int_div_zero 0
	.end_amdhsa_kernel
	.text
.Lfunc_end0:
	.size	_Z10ker_KeccakPKjPjS0_, .Lfunc_end0-_Z10ker_KeccakPKjPjS0_
                                        ; -- End function
	.set _Z10ker_KeccakPKjPjS0_.num_vgpr, 52
	.set _Z10ker_KeccakPKjPjS0_.num_agpr, 0
	.set _Z10ker_KeccakPKjPjS0_.numbered_sgpr, 12
	.set _Z10ker_KeccakPKjPjS0_.num_named_barrier, 0
	.set _Z10ker_KeccakPKjPjS0_.private_seg_size, 0
	.set _Z10ker_KeccakPKjPjS0_.uses_vcc, 0
	.set _Z10ker_KeccakPKjPjS0_.uses_flat_scratch, 0
	.set _Z10ker_KeccakPKjPjS0_.has_dyn_sized_stack, 0
	.set _Z10ker_KeccakPKjPjS0_.has_recursion, 0
	.set _Z10ker_KeccakPKjPjS0_.has_indirect_call, 0
	.section	.AMDGPU.csdata,"",@progbits
; Kernel info:
; codeLenInByte = 1196
; TotalNumSgprs: 18
; NumVgprs: 52
; NumAgprs: 0
; TotalNumVgprs: 52
; ScratchSize: 0
; MemoryBound: 0
; FloatMode: 240
; IeeeMode: 1
; LDSByteSize: 0 bytes/workgroup (compile time only)
; SGPRBlocks: 2
; VGPRBlocks: 6
; NumSGPRsForWavesPerEU: 18
; NumVGPRsForWavesPerEU: 52
; AccumOffset: 52
; Occupancy: 8
; WaveLimiterHint : 1
; COMPUTE_PGM_RSRC2:SCRATCH_EN: 0
; COMPUTE_PGM_RSRC2:USER_SGPR: 2
; COMPUTE_PGM_RSRC2:TRAP_HANDLER: 0
; COMPUTE_PGM_RSRC2:TGID_X_EN: 1
; COMPUTE_PGM_RSRC2:TGID_Y_EN: 0
; COMPUTE_PGM_RSRC2:TGID_Z_EN: 0
; COMPUTE_PGM_RSRC2:TIDIG_COMP_CNT: 0
; COMPUTE_PGM_RSRC3_GFX90A:ACCUM_OFFSET: 12
; COMPUTE_PGM_RSRC3_GFX90A:TG_SPLIT: 0
	.text
	.p2alignl 6, 3212836864
	.fill 256, 4, 3212836864
	.section	.AMDGPU.gpr_maximums,"",@progbits
	.set amdgpu.max_num_vgpr, 0
	.set amdgpu.max_num_agpr, 0
	.set amdgpu.max_num_sgpr, 0
	.text
	.type	__hip_cuid_6eeaaa0fdec5facb,@object ; @__hip_cuid_6eeaaa0fdec5facb
	.section	.bss,"aw",@nobits
	.globl	__hip_cuid_6eeaaa0fdec5facb
__hip_cuid_6eeaaa0fdec5facb:
	.byte	0                               ; 0x0
	.size	__hip_cuid_6eeaaa0fdec5facb, 1

	.ident	"AMD clang version 22.0.0git (https://github.com/RadeonOpenCompute/llvm-project roc-7.2.4 26084 f58b06dce1f9c15707c5f808fd002e18c2accf7e)"
	.section	".note.GNU-stack","",@progbits
	.addrsig
	.addrsig_sym __hip_cuid_6eeaaa0fdec5facb
	.amdgpu_metadata
---
amdhsa.kernels:
  - .agpr_count:     0
    .args:
      - .actual_access:  read_only
        .address_space:  global
        .offset:         0
        .size:           8
        .value_kind:     global_buffer
      - .actual_access:  write_only
        .address_space:  global
        .offset:         8
        .size:           8
        .value_kind:     global_buffer
      - .actual_access:  read_only
        .address_space:  global
        .offset:         16
        .size:           8
        .value_kind:     global_buffer
    .group_segment_fixed_size: 0
    .kernarg_segment_align: 8
    .kernarg_segment_size: 24
    .language:       OpenCL C
    .language_version:
      - 2
      - 0
    .max_flat_workgroup_size: 1024
    .name:           _Z10ker_KeccakPKjPjS0_
    .private_segment_fixed_size: 0
    .sgpr_count:     18
    .sgpr_spill_count: 0
    .symbol:         _Z10ker_KeccakPKjPjS0_.kd
    .uniform_work_group_size: 1
    .uses_dynamic_stack: false
    .vgpr_count:     52
    .vgpr_spill_count: 0
    .wavefront_size: 64
amdhsa.target:   amdgcn-amd-amdhsa--gfx950
amdhsa.version:
  - 1
  - 2
...

	.end_amdgpu_metadata
